;; amdgpu-corpus repo=ROCm/rocFFT kind=compiled arch=gfx1030 opt=O3
	.text
	.amdgcn_target "amdgcn-amd-amdhsa--gfx1030"
	.amdhsa_code_object_version 6
	.protected	fft_rtc_fwd_len350_factors_5_7_10_wgs_50_tpt_50_sp_op_CI_CI_unitstride_sbrr_R2C_dirReg ; -- Begin function fft_rtc_fwd_len350_factors_5_7_10_wgs_50_tpt_50_sp_op_CI_CI_unitstride_sbrr_R2C_dirReg
	.globl	fft_rtc_fwd_len350_factors_5_7_10_wgs_50_tpt_50_sp_op_CI_CI_unitstride_sbrr_R2C_dirReg
	.p2align	8
	.type	fft_rtc_fwd_len350_factors_5_7_10_wgs_50_tpt_50_sp_op_CI_CI_unitstride_sbrr_R2C_dirReg,@function
fft_rtc_fwd_len350_factors_5_7_10_wgs_50_tpt_50_sp_op_CI_CI_unitstride_sbrr_R2C_dirReg: ; @fft_rtc_fwd_len350_factors_5_7_10_wgs_50_tpt_50_sp_op_CI_CI_unitstride_sbrr_R2C_dirReg
; %bb.0:
	s_clause 0x2
	s_load_dwordx4 s[12:15], s[4:5], 0x0
	s_load_dwordx4 s[8:11], s[4:5], 0x58
	;; [unrolled: 1-line block ×3, first 2 shown]
	v_mul_u32_u24_e32 v1, 0x51f, v0
	v_mov_b32_e32 v3, 0
	v_add_nc_u32_sdwa v5, s6, v1 dst_sel:DWORD dst_unused:UNUSED_PAD src0_sel:DWORD src1_sel:WORD_1
	v_mov_b32_e32 v1, 0
	v_mov_b32_e32 v6, v3
	v_mov_b32_e32 v2, 0
	s_waitcnt lgkmcnt(0)
	v_cmp_lt_u64_e64 s0, s[14:15], 2
	s_and_b32 vcc_lo, exec_lo, s0
	s_cbranch_vccnz .LBB0_8
; %bb.1:
	s_load_dwordx2 s[0:1], s[4:5], 0x10
	v_mov_b32_e32 v1, 0
	v_mov_b32_e32 v2, 0
	s_add_u32 s2, s18, 8
	s_addc_u32 s3, s19, 0
	s_add_u32 s6, s16, 8
	s_addc_u32 s7, s17, 0
	v_mov_b32_e32 v23, v2
	v_mov_b32_e32 v22, v1
	s_mov_b64 s[22:23], 1
	s_waitcnt lgkmcnt(0)
	s_add_u32 s20, s0, 8
	s_addc_u32 s21, s1, 0
.LBB0_2:                                ; =>This Inner Loop Header: Depth=1
	s_load_dwordx2 s[24:25], s[20:21], 0x0
                                        ; implicit-def: $vgpr24_vgpr25
	s_mov_b32 s0, exec_lo
	s_waitcnt lgkmcnt(0)
	v_or_b32_e32 v4, s25, v6
	v_cmpx_ne_u64_e32 0, v[3:4]
	s_xor_b32 s1, exec_lo, s0
	s_cbranch_execz .LBB0_4
; %bb.3:                                ;   in Loop: Header=BB0_2 Depth=1
	v_cvt_f32_u32_e32 v4, s24
	v_cvt_f32_u32_e32 v7, s25
	s_sub_u32 s0, 0, s24
	s_subb_u32 s26, 0, s25
	v_fmac_f32_e32 v4, 0x4f800000, v7
	v_rcp_f32_e32 v4, v4
	v_mul_f32_e32 v4, 0x5f7ffffc, v4
	v_mul_f32_e32 v7, 0x2f800000, v4
	v_trunc_f32_e32 v7, v7
	v_fmac_f32_e32 v4, 0xcf800000, v7
	v_cvt_u32_f32_e32 v7, v7
	v_cvt_u32_f32_e32 v4, v4
	v_mul_lo_u32 v8, s0, v7
	v_mul_hi_u32 v9, s0, v4
	v_mul_lo_u32 v10, s26, v4
	v_add_nc_u32_e32 v8, v9, v8
	v_mul_lo_u32 v9, s0, v4
	v_add_nc_u32_e32 v8, v8, v10
	v_mul_hi_u32 v10, v4, v9
	v_mul_lo_u32 v11, v4, v8
	v_mul_hi_u32 v12, v4, v8
	v_mul_hi_u32 v13, v7, v9
	v_mul_lo_u32 v9, v7, v9
	v_mul_hi_u32 v14, v7, v8
	v_mul_lo_u32 v8, v7, v8
	v_add_co_u32 v10, vcc_lo, v10, v11
	v_add_co_ci_u32_e32 v11, vcc_lo, 0, v12, vcc_lo
	v_add_co_u32 v9, vcc_lo, v10, v9
	v_add_co_ci_u32_e32 v9, vcc_lo, v11, v13, vcc_lo
	v_add_co_ci_u32_e32 v10, vcc_lo, 0, v14, vcc_lo
	v_add_co_u32 v8, vcc_lo, v9, v8
	v_add_co_ci_u32_e32 v9, vcc_lo, 0, v10, vcc_lo
	v_add_co_u32 v4, vcc_lo, v4, v8
	v_add_co_ci_u32_e32 v7, vcc_lo, v7, v9, vcc_lo
	v_mul_hi_u32 v8, s0, v4
	v_mul_lo_u32 v10, s26, v4
	v_mul_lo_u32 v9, s0, v7
	v_add_nc_u32_e32 v8, v8, v9
	v_mul_lo_u32 v9, s0, v4
	v_add_nc_u32_e32 v8, v8, v10
	v_mul_hi_u32 v10, v4, v9
	v_mul_lo_u32 v11, v4, v8
	v_mul_hi_u32 v12, v4, v8
	v_mul_hi_u32 v13, v7, v9
	v_mul_lo_u32 v9, v7, v9
	v_mul_hi_u32 v14, v7, v8
	v_mul_lo_u32 v8, v7, v8
	v_add_co_u32 v10, vcc_lo, v10, v11
	v_add_co_ci_u32_e32 v11, vcc_lo, 0, v12, vcc_lo
	v_add_co_u32 v9, vcc_lo, v10, v9
	v_add_co_ci_u32_e32 v9, vcc_lo, v11, v13, vcc_lo
	v_add_co_ci_u32_e32 v10, vcc_lo, 0, v14, vcc_lo
	v_add_co_u32 v8, vcc_lo, v9, v8
	v_add_co_ci_u32_e32 v9, vcc_lo, 0, v10, vcc_lo
	v_add_co_u32 v4, vcc_lo, v4, v8
	v_add_co_ci_u32_e32 v11, vcc_lo, v7, v9, vcc_lo
	v_mul_hi_u32 v13, v5, v4
	v_mad_u64_u32 v[9:10], null, v6, v4, 0
	v_mad_u64_u32 v[7:8], null, v5, v11, 0
	;; [unrolled: 1-line block ×3, first 2 shown]
	v_add_co_u32 v4, vcc_lo, v13, v7
	v_add_co_ci_u32_e32 v7, vcc_lo, 0, v8, vcc_lo
	v_add_co_u32 v4, vcc_lo, v4, v9
	v_add_co_ci_u32_e32 v4, vcc_lo, v7, v10, vcc_lo
	v_add_co_ci_u32_e32 v7, vcc_lo, 0, v12, vcc_lo
	v_add_co_u32 v4, vcc_lo, v4, v11
	v_add_co_ci_u32_e32 v9, vcc_lo, 0, v7, vcc_lo
	v_mul_lo_u32 v10, s25, v4
	v_mad_u64_u32 v[7:8], null, s24, v4, 0
	v_mul_lo_u32 v11, s24, v9
	v_sub_co_u32 v7, vcc_lo, v5, v7
	v_add3_u32 v8, v8, v11, v10
	v_sub_nc_u32_e32 v10, v6, v8
	v_subrev_co_ci_u32_e64 v10, s0, s25, v10, vcc_lo
	v_add_co_u32 v11, s0, v4, 2
	v_add_co_ci_u32_e64 v12, s0, 0, v9, s0
	v_sub_co_u32 v13, s0, v7, s24
	v_sub_co_ci_u32_e32 v8, vcc_lo, v6, v8, vcc_lo
	v_subrev_co_ci_u32_e64 v10, s0, 0, v10, s0
	v_cmp_le_u32_e32 vcc_lo, s24, v13
	v_cmp_eq_u32_e64 s0, s25, v8
	v_cndmask_b32_e64 v13, 0, -1, vcc_lo
	v_cmp_le_u32_e32 vcc_lo, s25, v10
	v_cndmask_b32_e64 v14, 0, -1, vcc_lo
	v_cmp_le_u32_e32 vcc_lo, s24, v7
	;; [unrolled: 2-line block ×3, first 2 shown]
	v_cndmask_b32_e64 v15, 0, -1, vcc_lo
	v_cmp_eq_u32_e32 vcc_lo, s25, v10
	v_cndmask_b32_e64 v7, v15, v7, s0
	v_cndmask_b32_e32 v10, v14, v13, vcc_lo
	v_add_co_u32 v13, vcc_lo, v4, 1
	v_add_co_ci_u32_e32 v14, vcc_lo, 0, v9, vcc_lo
	v_cmp_ne_u32_e32 vcc_lo, 0, v10
	v_cndmask_b32_e32 v8, v14, v12, vcc_lo
	v_cndmask_b32_e32 v10, v13, v11, vcc_lo
	v_cmp_ne_u32_e32 vcc_lo, 0, v7
	v_cndmask_b32_e32 v25, v9, v8, vcc_lo
	v_cndmask_b32_e32 v24, v4, v10, vcc_lo
.LBB0_4:                                ;   in Loop: Header=BB0_2 Depth=1
	s_andn2_saveexec_b32 s0, s1
	s_cbranch_execz .LBB0_6
; %bb.5:                                ;   in Loop: Header=BB0_2 Depth=1
	v_cvt_f32_u32_e32 v4, s24
	s_sub_i32 s1, 0, s24
	v_mov_b32_e32 v25, v3
	v_rcp_iflag_f32_e32 v4, v4
	v_mul_f32_e32 v4, 0x4f7ffffe, v4
	v_cvt_u32_f32_e32 v4, v4
	v_mul_lo_u32 v7, s1, v4
	v_mul_hi_u32 v7, v4, v7
	v_add_nc_u32_e32 v4, v4, v7
	v_mul_hi_u32 v4, v5, v4
	v_mul_lo_u32 v7, v4, s24
	v_add_nc_u32_e32 v8, 1, v4
	v_sub_nc_u32_e32 v7, v5, v7
	v_subrev_nc_u32_e32 v9, s24, v7
	v_cmp_le_u32_e32 vcc_lo, s24, v7
	v_cndmask_b32_e32 v7, v7, v9, vcc_lo
	v_cndmask_b32_e32 v4, v4, v8, vcc_lo
	v_cmp_le_u32_e32 vcc_lo, s24, v7
	v_add_nc_u32_e32 v8, 1, v4
	v_cndmask_b32_e32 v24, v4, v8, vcc_lo
.LBB0_6:                                ;   in Loop: Header=BB0_2 Depth=1
	s_or_b32 exec_lo, exec_lo, s0
	v_mul_lo_u32 v4, v25, s24
	v_mul_lo_u32 v9, v24, s25
	s_load_dwordx2 s[0:1], s[6:7], 0x0
	v_mad_u64_u32 v[7:8], null, v24, s24, 0
	s_load_dwordx2 s[24:25], s[2:3], 0x0
	s_add_u32 s22, s22, 1
	s_addc_u32 s23, s23, 0
	s_add_u32 s2, s2, 8
	s_addc_u32 s3, s3, 0
	s_add_u32 s6, s6, 8
	v_add3_u32 v4, v8, v9, v4
	v_sub_co_u32 v5, vcc_lo, v5, v7
	s_addc_u32 s7, s7, 0
	s_add_u32 s20, s20, 8
	v_sub_co_ci_u32_e32 v4, vcc_lo, v6, v4, vcc_lo
	s_addc_u32 s21, s21, 0
	s_waitcnt lgkmcnt(0)
	v_mul_lo_u32 v6, s0, v4
	v_mul_lo_u32 v7, s1, v5
	v_mad_u64_u32 v[1:2], null, s0, v5, v[1:2]
	v_mul_lo_u32 v4, s24, v4
	v_mul_lo_u32 v8, s25, v5
	v_mad_u64_u32 v[22:23], null, s24, v5, v[22:23]
	v_cmp_ge_u64_e64 s0, s[22:23], s[14:15]
	v_add3_u32 v2, v7, v2, v6
	v_add3_u32 v23, v8, v23, v4
	s_and_b32 vcc_lo, exec_lo, s0
	s_cbranch_vccnz .LBB0_9
; %bb.7:                                ;   in Loop: Header=BB0_2 Depth=1
	v_mov_b32_e32 v5, v24
	v_mov_b32_e32 v6, v25
	s_branch .LBB0_2
.LBB0_8:
	v_mov_b32_e32 v23, v2
	v_mov_b32_e32 v25, v6
	;; [unrolled: 1-line block ×4, first 2 shown]
.LBB0_9:
	s_load_dwordx2 s[0:1], s[4:5], 0x28
	v_mul_hi_u32 v3, 0x51eb852, v0
	s_lshl_b64 s[4:5], s[14:15], 3
                                        ; implicit-def: $vgpr26
                                        ; implicit-def: $vgpr28
	s_add_u32 s2, s18, s4
	s_addc_u32 s3, s19, s5
	s_waitcnt lgkmcnt(0)
	v_cmp_gt_u64_e32 vcc_lo, s[0:1], v[24:25]
	v_cmp_le_u64_e64 s0, s[0:1], v[24:25]
	s_and_saveexec_b32 s1, s0
	s_xor_b32 s0, exec_lo, s1
; %bb.10:
	v_mul_u32_u24_e32 v1, 50, v3
                                        ; implicit-def: $vgpr3
	v_sub_nc_u32_e32 v26, v0, v1
                                        ; implicit-def: $vgpr0
                                        ; implicit-def: $vgpr1_vgpr2
	v_add_nc_u32_e32 v28, 50, v26
; %bb.11:
	s_andn2_saveexec_b32 s1, s0
	s_cbranch_execz .LBB0_13
; %bb.12:
	s_add_u32 s4, s16, s4
	s_addc_u32 s5, s17, s5
	v_lshlrev_b64 v[1:2], 3, v[1:2]
	s_load_dwordx2 s[4:5], s[4:5], 0x0
	s_waitcnt lgkmcnt(0)
	v_mul_lo_u32 v6, s5, v24
	v_mul_lo_u32 v7, s4, v25
	v_mad_u64_u32 v[4:5], null, s4, v24, 0
	v_add3_u32 v5, v5, v7, v6
	v_mul_u32_u24_e32 v6, 50, v3
	v_lshlrev_b64 v[3:4], 3, v[4:5]
	v_sub_nc_u32_e32 v26, v0, v6
	v_lshlrev_b32_e32 v14, 3, v26
	v_add_co_u32 v0, s0, s8, v3
	v_add_co_ci_u32_e64 v3, s0, s9, v4, s0
	v_add_nc_u32_e32 v28, 50, v26
	v_add_co_u32 v0, s0, v0, v1
	v_add_co_ci_u32_e64 v1, s0, v3, v2, s0
	v_add_co_u32 v0, s0, v0, v14
	v_add_co_ci_u32_e64 v1, s0, 0, v1, s0
	v_add_nc_u32_e32 v14, 0, v14
	v_add_co_u32 v2, s0, 0x800, v0
	v_add_co_ci_u32_e64 v3, s0, 0, v1, s0
	s_clause 0x6
	global_load_dwordx2 v[4:5], v[0:1], off
	global_load_dwordx2 v[6:7], v[0:1], off offset:400
	global_load_dwordx2 v[8:9], v[0:1], off offset:800
	;; [unrolled: 1-line block ×6, first 2 shown]
	s_waitcnt vmcnt(5)
	ds_write2_b64 v14, v[4:5], v[6:7] offset1:50
	s_waitcnt vmcnt(3)
	ds_write2_b64 v14, v[8:9], v[10:11] offset0:100 offset1:150
	s_waitcnt vmcnt(1)
	ds_write2_b64 v14, v[12:13], v[0:1] offset0:200 offset1:250
	s_waitcnt vmcnt(0)
	ds_write_b64 v14, v[2:3] offset:2400
.LBB0_13:
	s_or_b32 exec_lo, exec_lo, s1
	v_lshl_add_u32 v30, v26, 3, 0
	s_load_dwordx2 s[2:3], s[2:3], 0x0
	s_waitcnt lgkmcnt(0)
	s_barrier
	buffer_gl0_inv
	v_add_nc_u32_e32 v27, 0x400, v30
	v_add_nc_u32_e32 v0, 0x800, v30
	ds_read2_b64 v[2:5], v30 offset1:50
	ds_read2_b64 v[14:17], v30 offset0:70 offset1:120
	ds_read2_b64 v[6:9], v30 offset0:140 offset1:190
	s_mov_b32 s1, exec_lo
	ds_read2_b64 v[18:21], v27 offset0:82 offset1:132
	ds_read2_b64 v[10:13], v0 offset0:24 offset1:74
	s_waitcnt lgkmcnt(0)
	s_barrier
	buffer_gl0_inv
	v_add_f32_e32 v0, v2, v14
	v_sub_f32_e32 v1, v14, v6
	v_sub_f32_e32 v29, v6, v14
	v_add_f32_e32 v32, v6, v18
	v_add_f32_e32 v34, v14, v10
	v_sub_f32_e32 v35, v15, v11
	v_sub_f32_e32 v37, v7, v19
	;; [unrolled: 1-line block ×4, first 2 shown]
	v_add_f32_e32 v38, v7, v19
	v_fma_f32 v32, -0.5, v32, v2
	v_fma_f32 v34, -0.5, v34, v2
	v_add_f32_e32 v0, v0, v6
	v_sub_f32_e32 v14, v14, v10
	v_add_f32_e32 v41, v15, v11
	v_add_f32_e32 v1, v1, v33
	;; [unrolled: 1-line block ×3, first 2 shown]
	v_fma_f32 v33, -0.5, v38, v3
	v_fmamk_f32 v36, v35, 0x3f737871, v32
	v_fmac_f32_e32 v32, 0xbf737871, v35
	v_fmamk_f32 v38, v37, 0xbf737871, v34
	v_fmac_f32_e32 v34, 0x3f737871, v37
	v_add_f32_e32 v31, v3, v15
	v_sub_f32_e32 v39, v15, v7
	v_sub_f32_e32 v6, v6, v18
	;; [unrolled: 1-line block ×3, first 2 shown]
	v_add_f32_e32 v0, v0, v18
	v_fmac_f32_e32 v36, 0x3f167918, v37
	v_fmac_f32_e32 v32, 0xbf167918, v37
	;; [unrolled: 1-line block ×4, first 2 shown]
	v_fmamk_f32 v37, v14, 0xbf737871, v33
	v_fmac_f32_e32 v33, 0x3f737871, v14
	v_fma_f32 v35, -0.5, v41, v3
	v_add_f32_e32 v3, v8, v20
	v_add_f32_e32 v40, v0, v10
	v_fmac_f32_e32 v36, 0x3e9e377a, v1
	v_fmac_f32_e32 v32, 0x3e9e377a, v1
	;; [unrolled: 1-line block ×5, first 2 shown]
	v_add_f32_e32 v0, v39, v42
	v_fmac_f32_e32 v33, 0x3f167918, v6
	v_fmamk_f32 v39, v6, 0x3f737871, v35
	v_sub_f32_e32 v1, v7, v15
	v_sub_f32_e32 v2, v19, v11
	v_fmac_f32_e32 v35, 0xbf737871, v6
	v_fma_f32 v6, -0.5, v3, v4
	v_sub_f32_e32 v3, v16, v8
	v_sub_f32_e32 v10, v12, v20
	v_add_f32_e32 v31, v31, v7
	v_fmac_f32_e32 v39, 0xbf167918, v14
	v_add_f32_e32 v1, v1, v2
	v_fmac_f32_e32 v35, 0x3f167918, v14
	v_add_f32_e32 v10, v3, v10
	v_sub_f32_e32 v3, v8, v16
	v_sub_f32_e32 v14, v20, v12
	v_add_f32_e32 v18, v31, v19
	v_fmac_f32_e32 v37, 0x3e9e377a, v0
	v_fmac_f32_e32 v33, 0x3e9e377a, v0
	v_add_f32_e32 v0, v16, v12
	v_fmac_f32_e32 v39, 0x3e9e377a, v1
	v_fmac_f32_e32 v35, 0x3e9e377a, v1
	v_add_f32_e32 v1, v9, v21
	v_add_f32_e32 v42, v3, v14
	;; [unrolled: 1-line block ×4, first 2 shown]
	v_sub_f32_e32 v7, v17, v13
	v_sub_f32_e32 v11, v9, v21
	v_fma_f32 v0, -0.5, v0, v4
	v_fma_f32 v14, -0.5, v1, v5
	v_sub_f32_e32 v31, v16, v12
	v_sub_f32_e32 v15, v8, v20
	v_fma_f32 v1, -0.5, v3, v5
	v_fmamk_f32 v2, v7, 0xbf737871, v6
	v_fmamk_f32 v18, v11, 0xbf737871, v0
	v_fmac_f32_e32 v0, 0x3f737871, v11
	v_sub_f32_e32 v29, v17, v9
	v_sub_f32_e32 v43, v13, v21
	v_fmamk_f32 v3, v31, 0x3f737871, v14
	v_fmamk_f32 v19, v15, 0x3f737871, v1
	v_sub_f32_e32 v44, v9, v17
	v_sub_f32_e32 v45, v21, v13
	v_fmac_f32_e32 v1, 0xbf737871, v15
	v_fmac_f32_e32 v2, 0xbf167918, v11
	;; [unrolled: 1-line block ×4, first 2 shown]
	v_add_f32_e32 v29, v29, v43
	v_fmac_f32_e32 v3, 0x3f167918, v15
	v_fmac_f32_e32 v19, 0xbf167918, v31
	v_add_f32_e32 v43, v44, v45
	v_fmac_f32_e32 v1, 0x3f167918, v31
	v_fmac_f32_e32 v2, 0x3e9e377a, v10
	;; [unrolled: 1-line block ×7, first 2 shown]
	v_lshl_add_u32 v42, v26, 5, v30
	ds_write2_b64 v42, v[40:41], v[36:37] offset1:1
	ds_write2_b64 v42, v[38:39], v[34:35] offset0:2 offset1:3
	ds_write_b64 v42, v[32:33] offset:32
	v_cmpx_gt_u32_e32 20, v26
	s_cbranch_execz .LBB0_15
; %bb.14:
	v_mul_f32_e32 v7, 0x3f737871, v7
	v_mul_f32_e32 v31, 0x3f737871, v31
	v_add_f32_e32 v5, v5, v17
	v_add_f32_e32 v4, v4, v16
	v_mul_f32_e32 v11, 0x3f167918, v11
	v_mul_f32_e32 v15, 0x3f167918, v15
	v_sub_f32_e32 v14, v14, v31
	v_add_f32_e32 v5, v5, v9
	v_add_f32_e32 v6, v6, v7
	;; [unrolled: 1-line block ×3, first 2 shown]
	v_mul_f32_e32 v10, 0x3e9e377a, v10
	v_mul_f32_e32 v7, 0x3e9e377a, v29
	v_sub_f32_e32 v8, v14, v15
	v_add_f32_e32 v9, v5, v21
	v_add_f32_e32 v6, v11, v6
	;; [unrolled: 1-line block ×7, first 2 shown]
	v_mad_i32_i24 v8, v28, 40, 0
	ds_write2_b64 v8, v[6:7], v[4:5] offset1:1
	ds_write2_b64 v8, v[18:19], v[0:1] offset0:2 offset1:3
	ds_write_b64 v8, v[2:3] offset:32
.LBB0_15:
	s_or_b32 exec_lo, exec_lo, s1
	v_and_b32_e32 v4, 0xff, v26
	v_mov_b32_e32 v5, 6
	s_waitcnt lgkmcnt(0)
	s_barrier
	buffer_gl0_inv
	v_mul_lo_u16 v4, 0xcd, v4
	v_lshl_add_u32 v20, v28, 3, 0
	v_mov_b32_e32 v43, 0x118
	v_mov_b32_e32 v44, 3
	v_cmp_gt_u32_e64 s0, 35, v26
	v_lshrrev_b16 v21, 10, v4
	v_mul_lo_u16 v4, v21, 5
	v_mul_u32_u24_sdwa v21, v21, v43 dst_sel:DWORD dst_unused:UNUSED_PAD src0_sel:WORD_0 src1_sel:DWORD
	v_sub_nc_u16 v29, v26, v4
	v_mul_u32_u24_sdwa v4, v29, v5 dst_sel:DWORD dst_unused:UNUSED_PAD src0_sel:BYTE_0 src1_sel:DWORD
	v_lshlrev_b32_e32 v12, 3, v4
	s_clause 0x2
	global_load_dwordx4 v[4:7], v12, s[12:13]
	global_load_dwordx4 v[8:11], v12, s[12:13] offset:16
	global_load_dwordx4 v[12:15], v12, s[12:13] offset:32
	ds_read_b64 v[16:17], v20
	ds_read2_b64 v[31:34], v30 offset1:100
	ds_read2_b64 v[35:38], v30 offset0:150 offset1:200
	ds_read2_b64 v[39:42], v27 offset0:122 offset1:172
	v_lshlrev_b32_sdwa v27, v44, v29 dst_sel:DWORD dst_unused:UNUSED_PAD src0_sel:DWORD src1_sel:BYTE_0
	s_waitcnt vmcnt(0) lgkmcnt(0)
	s_barrier
	buffer_gl0_inv
	v_add3_u32 v21, 0, v21, v27
	v_mul_f32_e32 v27, v5, v17
	v_mul_f32_e32 v5, v5, v16
	;; [unrolled: 1-line block ×12, first 2 shown]
	v_fma_f32 v16, v4, v16, -v27
	v_fmac_f32_e32 v5, v4, v17
	v_fma_f32 v4, v6, v33, -v29
	v_fmac_f32_e32 v7, v6, v34
	;; [unrolled: 2-line block ×3, first 2 shown]
	v_fma_f32 v8, v10, v37, -v44
	v_fma_f32 v17, v14, v41, -v46
	v_fmac_f32_e32 v15, v14, v42
	v_fmac_f32_e32 v11, v10, v38
	v_fma_f32 v10, v12, v39, -v45
	v_fmac_f32_e32 v13, v12, v40
	v_add_f32_e32 v12, v16, v17
	v_add_f32_e32 v14, v5, v15
	v_sub_f32_e32 v16, v16, v17
	v_sub_f32_e32 v5, v5, v15
	v_add_f32_e32 v15, v4, v10
	v_add_f32_e32 v17, v7, v13
	v_sub_f32_e32 v4, v4, v10
	v_sub_f32_e32 v7, v7, v13
	;; [unrolled: 4-line block ×4, first 2 shown]
	v_sub_f32_e32 v12, v12, v10
	v_sub_f32_e32 v14, v14, v13
	;; [unrolled: 1-line block ×4, first 2 shown]
	v_add_f32_e32 v33, v6, v4
	v_add_f32_e32 v34, v8, v7
	v_sub_f32_e32 v35, v6, v4
	v_sub_f32_e32 v36, v8, v7
	;; [unrolled: 1-line block ×4, first 2 shown]
	v_add_f32_e32 v9, v10, v9
	v_add_f32_e32 v10, v13, v11
	v_sub_f32_e32 v6, v16, v6
	v_sub_f32_e32 v8, v5, v8
	v_add_f32_e32 v11, v33, v16
	v_add_f32_e32 v13, v34, v5
	v_mul_f32_e32 v12, 0x3f4a47b2, v12
	v_mul_f32_e32 v14, 0x3f4a47b2, v14
	;; [unrolled: 1-line block ×8, first 2 shown]
	v_add_f32_e32 v4, v9, v31
	v_add_f32_e32 v5, v10, v32
	v_fmamk_f32 v15, v15, 0x3d64c772, v12
	v_fmamk_f32 v17, v17, 0x3d64c772, v14
	v_fma_f32 v16, 0x3f3bfb3b, v27, -v16
	v_fma_f32 v31, 0x3f3bfb3b, v29, -v33
	;; [unrolled: 1-line block ×4, first 2 shown]
	v_fmamk_f32 v27, v6, 0x3eae86e6, v34
	v_fmamk_f32 v29, v8, 0x3eae86e6, v35
	v_fma_f32 v32, 0x3f5ff5aa, v37, -v34
	v_fma_f32 v33, 0x3f5ff5aa, v7, -v35
	;; [unrolled: 1-line block ×4, first 2 shown]
	v_fmamk_f32 v6, v9, 0xbf955555, v4
	v_fmamk_f32 v7, v10, 0xbf955555, v5
	v_fmac_f32_e32 v27, 0x3ee1c552, v11
	v_fmac_f32_e32 v29, 0x3ee1c552, v13
	;; [unrolled: 1-line block ×6, first 2 shown]
	v_add_f32_e32 v36, v15, v6
	v_add_f32_e32 v17, v17, v7
	;; [unrolled: 1-line block ×7, first 2 shown]
	v_sub_f32_e32 v7, v17, v27
	v_add_f32_e32 v8, v35, v15
	v_sub_f32_e32 v9, v16, v34
	v_sub_f32_e32 v10, v13, v33
	v_add_f32_e32 v11, v32, v14
	v_add_f32_e32 v12, v33, v13
	v_sub_f32_e32 v13, v14, v32
	v_sub_f32_e32 v14, v15, v35
	v_add_f32_e32 v15, v34, v16
	v_sub_f32_e32 v16, v36, v29
	v_add_f32_e32 v17, v27, v17
	ds_write2_b64 v21, v[4:5], v[6:7] offset1:5
	ds_write2_b64 v21, v[8:9], v[10:11] offset0:10 offset1:15
	ds_write2_b64 v21, v[12:13], v[14:15] offset0:20 offset1:25
	ds_write_b64 v21, v[16:17] offset:240
	s_waitcnt lgkmcnt(0)
	s_barrier
	buffer_gl0_inv
	s_and_saveexec_b32 s1, s0
	s_cbranch_execz .LBB0_17
; %bb.16:
	v_add_nc_u32_e32 v0, 0x800, v30
	ds_read2_b64 v[16:19], v30 offset0:210 offset1:245
	ds_read2_b64 v[0:3], v0 offset0:24 offset1:59
	ds_read2_b64 v[4:7], v30 offset1:35
	ds_read2_b64 v[8:11], v30 offset0:70 offset1:105
	ds_read2_b64 v[12:15], v30 offset0:140 offset1:175
.LBB0_17:
	s_or_b32 exec_lo, exec_lo, s1
	s_waitcnt lgkmcnt(0)
	s_barrier
	buffer_gl0_inv
	s_and_saveexec_b32 s1, s0
	s_cbranch_execz .LBB0_19
; %bb.18:
	v_subrev_nc_u32_e32 v21, 35, v26
	v_mov_b32_e32 v32, 0
	v_cndmask_b32_e64 v21, v21, v26, s0
	v_mul_i32_i24_e32 v31, 9, v21
	v_add_nc_u32_e32 v21, 0x800, v30
	v_lshlrev_b64 v[31:32], 3, v[31:32]
	v_add_co_u32 v47, s0, s12, v31
	v_add_co_ci_u32_e64 v48, s0, s13, v32, s0
	s_clause 0x4
	global_load_dwordx4 v[31:34], v[47:48], off offset:240
	global_load_dwordx4 v[35:38], v[47:48], off offset:256
	;; [unrolled: 1-line block ×4, first 2 shown]
	global_load_dwordx2 v[47:48], v[47:48], off offset:304
	s_waitcnt vmcnt(4)
	v_mul_f32_e32 v27, v8, v34
	s_waitcnt vmcnt(3)
	v_mul_f32_e32 v29, v12, v38
	;; [unrolled: 2-line block ×4, first 2 shown]
	v_mul_f32_e32 v38, v13, v38
	v_mul_f32_e32 v51, v11, v36
	;; [unrolled: 1-line block ×3, first 2 shown]
	s_waitcnt vmcnt(0)
	v_mul_f32_e32 v53, v3, v48
	v_mul_f32_e32 v54, v19, v40
	;; [unrolled: 1-line block ×6, first 2 shown]
	v_fmac_f32_e32 v50, v17, v45
	v_mul_f32_e32 v17, v2, v48
	v_mul_f32_e32 v34, v9, v34
	;; [unrolled: 1-line block ×5, first 2 shown]
	v_fmac_f32_e32 v27, v9, v33
	v_fmac_f32_e32 v29, v13, v37
	;; [unrolled: 1-line block ×3, first 2 shown]
	v_fma_f32 v1, v12, v37, -v38
	v_fma_f32 v9, v10, v35, -v51
	;; [unrolled: 1-line block ×5, first 2 shown]
	v_fmac_f32_e32 v44, v15, v43
	v_fmac_f32_e32 v40, v19, v39
	;; [unrolled: 1-line block ×4, first 2 shown]
	v_fma_f32 v16, v16, v45, -v46
	v_fma_f32 v8, v8, v33, -v34
	;; [unrolled: 1-line block ×4, first 2 shown]
	v_fmac_f32_e32 v32, v7, v31
	v_sub_f32_e32 v3, v27, v29
	v_sub_f32_e32 v7, v49, v50
	;; [unrolled: 1-line block ×4, first 2 shown]
	v_add_f32_e32 v19, v10, v12
	v_add_f32_e32 v39, v44, v40
	;; [unrolled: 1-line block ×4, first 2 shown]
	v_sub_f32_e32 v13, v8, v0
	v_sub_f32_e32 v31, v36, v17
	;; [unrolled: 1-line block ×9, first 2 shown]
	v_add_f32_e32 v36, v32, v36
	v_sub_f32_e32 v54, v8, v1
	v_add_f32_e32 v56, v1, v16
	v_sub_f32_e32 v58, v1, v8
	v_add_f32_e32 v60, v8, v0
	v_add_f32_e32 v8, v4, v8
	;; [unrolled: 1-line block ×5, first 2 shown]
	v_fma_f32 v15, -0.5, v19, v6
	v_fma_f32 v19, -0.5, v39, v32
	v_add_f32_e32 v14, v29, v50
	v_sub_f32_e32 v33, v44, v40
	v_sub_f32_e32 v37, v10, v12
	v_add_f32_e32 v43, v27, v49
	v_sub_f32_e32 v46, v12, v2
	v_add_f32_e32 v53, v5, v27
	v_fma_f32 v6, -0.5, v47, v6
	v_fma_f32 v32, -0.5, v52, v32
	v_sub_f32_e32 v11, v1, v16
	v_add_f32_e32 v18, v34, v35
	v_add_f32_e32 v34, v41, v42
	;; [unrolled: 1-line block ×3, first 2 shown]
	v_fma_f32 v42, -0.5, v56, v4
	v_fma_f32 v44, -0.5, v60, v4
	v_add_f32_e32 v1, v8, v1
	v_add_f32_e32 v4, v9, v10
	v_fmamk_f32 v8, v31, 0xbf737871, v15
	v_fmamk_f32 v9, v38, 0x3f737871, v19
	v_fmac_f32_e32 v19, 0xbf737871, v38
	v_fmac_f32_e32 v15, 0x3f737871, v31
	v_sub_f32_e32 v51, v40, v17
	v_sub_f32_e32 v57, v29, v50
	v_fma_f32 v14, -0.5, v14, v5
	v_fma_f32 v35, -0.5, v43, v5
	v_add_f32_e32 v5, v45, v46
	v_add_f32_e32 v29, v53, v29
	v_fmamk_f32 v46, v33, 0x3f737871, v6
	v_fmamk_f32 v47, v37, 0xbf737871, v32
	v_fmac_f32_e32 v32, 0x3f737871, v37
	v_fmac_f32_e32 v6, 0xbf737871, v33
	v_sub_f32_e32 v27, v27, v49
	v_fmac_f32_e32 v19, 0xbf167918, v37
	v_fmac_f32_e32 v15, 0x3f167918, v33
	v_add_f32_e32 v39, v48, v51
	v_fmamk_f32 v10, v13, 0x3f737871, v14
	v_fmac_f32_e32 v14, 0xbf737871, v13
	v_add_f32_e32 v29, v29, v50
	v_add_f32_e32 v36, v36, v40
	v_fmac_f32_e32 v46, 0xbf167918, v31
	v_fmac_f32_e32 v47, 0x3f167918, v38
	v_fmac_f32_e32 v32, 0xbf167918, v38
	v_fmac_f32_e32 v6, 0x3f167918, v31
	v_fmac_f32_e32 v8, 0xbf167918, v33
	v_fmac_f32_e32 v9, 0x3f167918, v37
	v_sub_f32_e32 v55, v0, v16
	v_fmamk_f32 v40, v27, 0xbf737871, v42
	v_fmac_f32_e32 v42, 0x3f737871, v27
	v_fmac_f32_e32 v19, 0x3e9e377a, v18
	;; [unrolled: 1-line block ×3, first 2 shown]
	v_sub_f32_e32 v59, v16, v0
	v_fmamk_f32 v45, v11, 0xbf737871, v35
	v_fmac_f32_e32 v35, 0x3f737871, v11
	v_fmamk_f32 v48, v57, 0x3f737871, v44
	v_fmac_f32_e32 v44, 0xbf737871, v57
	v_add_f32_e32 v1, v1, v16
	v_add_f32_e32 v4, v4, v12
	v_fmac_f32_e32 v10, 0x3f167918, v11
	v_fmac_f32_e32 v14, 0xbf167918, v11
	v_add_f32_e32 v11, v29, v49
	v_add_f32_e32 v12, v36, v17
	v_fmac_f32_e32 v46, 0x3e9e377a, v5
	v_fmac_f32_e32 v47, 0x3e9e377a, v39
	;; [unrolled: 1-line block ×6, first 2 shown]
	v_add_f32_e32 v41, v54, v55
	v_fmac_f32_e32 v42, 0x3f167918, v57
	v_mul_f32_e32 v16, 0xbf167918, v15
	v_mul_f32_e32 v29, 0x3f167918, v19
	v_add_f32_e32 v43, v58, v59
	v_fmac_f32_e32 v45, 0x3f167918, v13
	v_fmac_f32_e32 v35, 0xbf167918, v13
	;; [unrolled: 1-line block ×4, first 2 shown]
	v_add_f32_e32 v13, v1, v0
	v_fmac_f32_e32 v10, 0x3e9e377a, v3
	v_fmac_f32_e32 v14, 0x3e9e377a, v3
	v_sub_f32_e32 v1, v11, v12
	v_add_f32_e32 v3, v11, v12
	v_mul_f32_e32 v5, 0x3e9e377a, v47
	v_mul_f32_e32 v12, 0xbf737871, v6
	;; [unrolled: 1-line block ×4, first 2 shown]
	v_fmac_f32_e32 v40, 0xbf167918, v57
	v_add_f32_e32 v2, v4, v2
	v_mul_f32_e32 v4, 0x3f4f1bbd, v9
	v_mul_f32_e32 v7, 0x3f4f1bbd, v8
	v_fmac_f32_e32 v42, 0x3e9e377a, v41
	v_fmac_f32_e32 v16, 0x3f4f1bbd, v19
	;; [unrolled: 1-line block ×7, first 2 shown]
	v_fma_f32 v17, 0xbf737871, v46, -v5
	v_fmac_f32_e32 v12, 0x3e9e377a, v32
	v_fma_f32 v32, 0x3f737871, v47, -v11
	v_fmac_f32_e32 v27, 0x3e9e377a, v6
	v_fmac_f32_e32 v40, 0x3e9e377a, v41
	v_sub_f32_e32 v0, v13, v2
	v_add_f32_e32 v2, v13, v2
	v_fma_f32 v13, 0xbf167918, v8, -v4
	v_fma_f32 v31, 0x3f167918, v9, -v7
	v_add_f32_e32 v19, v14, v16
	v_add_f32_e32 v18, v42, v29
	v_sub_f32_e32 v7, v45, v17
	v_sub_f32_e32 v11, v14, v16
	v_add_f32_e32 v15, v45, v17
	v_add_f32_e32 v17, v35, v12
	;; [unrolled: 1-line block ×4, first 2 shown]
	v_sub_f32_e32 v5, v10, v13
	v_sub_f32_e32 v9, v35, v12
	v_add_f32_e32 v13, v10, v13
	v_add_f32_e32 v12, v40, v31
	v_sub_f32_e32 v8, v44, v27
	v_sub_f32_e32 v10, v42, v29
	;; [unrolled: 1-line block ×4, first 2 shown]
	ds_write2_b64 v30, v[2:3], v[18:19] offset1:35
	ds_write2_b64 v30, v[16:17], v[14:15] offset0:70 offset1:105
	ds_write2_b64 v30, v[12:13], v[0:1] offset0:140 offset1:175
	;; [unrolled: 1-line block ×4, first 2 shown]
.LBB0_19:
	s_or_b32 exec_lo, exec_lo, s1
	s_waitcnt lgkmcnt(0)
	s_barrier
	buffer_gl0_inv
	ds_read_b64 v[4:5], v30
	v_lshlrev_b32_e32 v0, 3, v26
	s_add_u32 s1, s12, 0xac8
	s_addc_u32 s4, s13, 0
	s_mov_b32 s5, exec_lo
                                        ; implicit-def: $vgpr1
                                        ; implicit-def: $vgpr7
                                        ; implicit-def: $vgpr2_vgpr3
	v_sub_nc_u32_e32 v6, 0, v0
	v_cmpx_ne_u32_e32 0, v26
	s_xor_b32 s5, exec_lo, s5
	s_cbranch_execz .LBB0_21
; %bb.20:
	v_mov_b32_e32 v27, 0
	ds_read_b64 v[7:8], v6 offset:2800
	v_lshlrev_b64 v[0:1], 3, v[26:27]
	v_add_co_u32 v0, s0, s1, v0
	v_add_co_ci_u32_e64 v1, s0, s4, v1, s0
	global_load_dwordx2 v[1:2], v[0:1], off
	s_waitcnt lgkmcnt(0)
	v_sub_f32_e32 v0, v4, v7
	v_add_f32_e32 v3, v8, v5
	v_sub_f32_e32 v5, v5, v8
	v_mul_f32_e32 v8, 0.5, v0
	v_add_f32_e32 v0, v7, v4
	v_mul_f32_e32 v4, 0.5, v5
	v_mul_f32_e32 v3, 0.5, v3
	s_waitcnt vmcnt(0)
	v_mul_f32_e32 v5, v2, v8
	v_fma_f32 v7, v3, v2, v4
	v_fma_f32 v2, v3, v2, -v4
	v_fma_f32 v9, 0.5, v0, v5
	v_fma_f32 v0, v0, 0.5, -v5
	v_fma_f32 v7, -v1, v8, v7
                                        ; implicit-def: $vgpr4_vgpr5
	v_fmac_f32_e32 v9, v1, v3
	v_fma_f32 v0, -v1, v3, v0
	v_fma_f32 v1, -v1, v8, v2
	v_mov_b32_e32 v2, v26
	v_mov_b32_e32 v3, v27
	ds_write_b32 v30, v9
.LBB0_21:
	s_andn2_saveexec_b32 s0, s5
	s_cbranch_execz .LBB0_23
; %bb.22:
	v_mov_b32_e32 v7, 0
	v_mov_b32_e32 v2, 0
	s_waitcnt lgkmcnt(0)
	v_add_f32_e32 v8, v4, v5
	v_sub_f32_e32 v0, v4, v5
	v_mov_b32_e32 v3, 0
	ds_read_b32 v1, v7 offset:1404
	s_waitcnt lgkmcnt(0)
	v_xor_b32_e32 v4, 0x80000000, v1
	v_mov_b32_e32 v1, v7
	ds_write_b32 v30, v8
	ds_write_b32 v7, v4 offset:1404
.LBB0_23:
	s_or_b32 exec_lo, exec_lo, s0
	v_mov_b32_e32 v29, 0
	v_lshlrev_b64 v[2:3], 3, v[2:3]
	s_waitcnt lgkmcnt(0)
	v_lshlrev_b64 v[4:5], 3, v[28:29]
	v_add_co_u32 v4, s0, s1, v4
	v_add_co_ci_u32_e64 v5, s0, s4, v5, s0
	v_add_co_u32 v2, s0, s1, v2
	v_add_co_ci_u32_e64 v3, s0, s4, v3, s0
	global_load_dwordx2 v[4:5], v[4:5], off
	s_mov_b32 s1, exec_lo
	global_load_dwordx2 v[8:9], v[2:3], off offset:800
	ds_write_b32 v30, v7 offset:4
	ds_write_b64 v6, v[0:1] offset:2800
	ds_read_b64 v[0:1], v20
	ds_read_b64 v[10:11], v6 offset:2400
	s_waitcnt lgkmcnt(0)
	v_sub_f32_e32 v7, v0, v10
	v_add_f32_e32 v12, v1, v11
	v_sub_f32_e32 v1, v1, v11
	v_add_f32_e32 v10, v0, v10
	v_mul_f32_e32 v7, 0.5, v7
	v_mul_f32_e32 v11, 0.5, v12
	;; [unrolled: 1-line block ×3, first 2 shown]
	s_waitcnt vmcnt(1)
	v_mul_f32_e32 v12, v5, v7
	v_fma_f32 v13, v11, v5, v1
	v_fma_f32 v5, v11, v5, -v1
	v_fma_f32 v0, 0.5, v10, v12
	v_fma_f32 v10, v10, 0.5, -v12
	v_fma_f32 v1, -v4, v7, v13
	v_fma_f32 v5, -v4, v7, v5
	v_fmac_f32_e32 v0, v4, v11
	v_fma_f32 v4, -v4, v11, v10
	ds_write_b64 v20, v[0:1]
	ds_write_b64 v6, v[4:5] offset:2400
	ds_read_b64 v[0:1], v30 offset:800
	ds_read_b64 v[4:5], v6 offset:2000
	s_waitcnt lgkmcnt(0)
	v_sub_f32_e32 v7, v0, v4
	v_add_f32_e32 v10, v1, v5
	v_sub_f32_e32 v1, v1, v5
	v_add_f32_e32 v4, v0, v4
	v_mul_f32_e32 v5, 0.5, v7
	v_mul_f32_e32 v7, 0.5, v10
	;; [unrolled: 1-line block ×3, first 2 shown]
	s_waitcnt vmcnt(0)
	v_mul_f32_e32 v10, v9, v5
	v_fma_f32 v11, v7, v9, v1
	v_fma_f32 v9, v7, v9, -v1
	v_fma_f32 v0, 0.5, v4, v10
	v_fma_f32 v4, v4, 0.5, -v10
	v_fma_f32 v1, -v8, v5, v11
	v_fma_f32 v5, -v8, v5, v9
	v_fmac_f32_e32 v0, v8, v7
	v_fma_f32 v4, -v8, v7, v4
	ds_write_b64 v30, v[0:1] offset:800
	ds_write_b64 v6, v[4:5] offset:2000
	v_cmpx_gt_u32_e32 25, v26
	s_cbranch_execz .LBB0_25
; %bb.24:
	global_load_dwordx2 v[0:1], v[2:3], off offset:1200
	ds_read_b64 v[2:3], v30 offset:1200
	ds_read_b64 v[4:5], v6 offset:1600
	s_waitcnt lgkmcnt(0)
	v_sub_f32_e32 v7, v2, v4
	v_add_f32_e32 v8, v3, v5
	v_sub_f32_e32 v3, v3, v5
	v_add_f32_e32 v2, v2, v4
	v_mul_f32_e32 v5, 0.5, v7
	v_mul_f32_e32 v7, 0.5, v8
	;; [unrolled: 1-line block ×3, first 2 shown]
	s_waitcnt vmcnt(0)
	v_mul_f32_e32 v4, v1, v5
	v_fma_f32 v8, v7, v1, v3
	v_fma_f32 v3, v7, v1, -v3
	v_fma_f32 v1, 0.5, v2, v4
	v_fma_f32 v9, v2, 0.5, -v4
	v_fma_f32 v2, -v0, v5, v8
	v_fma_f32 v4, -v0, v5, v3
	v_fmac_f32_e32 v1, v0, v7
	v_fma_f32 v3, -v0, v7, v9
	ds_write_b64 v30, v[1:2] offset:1200
	ds_write_b64 v6, v[3:4] offset:1600
.LBB0_25:
	s_or_b32 exec_lo, exec_lo, s1
	s_waitcnt lgkmcnt(0)
	s_barrier
	buffer_gl0_inv
	s_and_saveexec_b32 s0, vcc_lo
	s_cbranch_execz .LBB0_28
; %bb.26:
	v_mul_lo_u32 v2, s3, v24
	v_mul_lo_u32 v3, s2, v25
	v_mad_u64_u32 v[0:1], null, s2, v24, 0
	v_lshl_add_u32 v18, v26, 3, 0
	v_mov_b32_e32 v27, 0
	v_lshlrev_b64 v[10:11], 3, v[22:23]
	v_add_nc_u32_e32 v12, 50, v26
	v_add_nc_u32_e32 v14, 0x64, v26
	ds_read2_b64 v[6:9], v18 offset0:100 offset1:150
	v_add3_u32 v1, v1, v3, v2
	ds_read2_b64 v[2:5], v18 offset1:50
	v_mov_b32_e32 v13, v27
	v_lshlrev_b64 v[16:17], 3, v[26:27]
	v_mov_b32_e32 v15, v27
	v_lshlrev_b64 v[0:1], 3, v[0:1]
	v_lshlrev_b64 v[12:13], 3, v[12:13]
	v_add_co_u32 v0, vcc_lo, s10, v0
	v_add_co_ci_u32_e32 v1, vcc_lo, s11, v1, vcc_lo
	v_add_co_u32 v0, vcc_lo, v0, v10
	v_add_co_ci_u32_e32 v1, vcc_lo, v1, v11, vcc_lo
	v_lshlrev_b64 v[10:11], 3, v[14:15]
	v_add_co_u32 v14, vcc_lo, v0, v16
	v_add_co_ci_u32_e32 v15, vcc_lo, v1, v17, vcc_lo
	v_add_co_u32 v12, vcc_lo, v0, v12
	v_add_co_ci_u32_e32 v13, vcc_lo, v1, v13, vcc_lo
	v_add_co_u32 v10, vcc_lo, v0, v10
	v_add_nc_u32_e32 v16, 0x96, v26
	v_mov_b32_e32 v17, v27
	v_add_co_ci_u32_e32 v11, vcc_lo, v1, v11, vcc_lo
	s_waitcnt lgkmcnt(0)
	global_store_dwordx2 v[14:15], v[2:3], off
	global_store_dwordx2 v[12:13], v[4:5], off
	;; [unrolled: 1-line block ×3, first 2 shown]
	v_lshlrev_b64 v[2:3], 3, v[16:17]
	v_add_nc_u32_e32 v6, 0xc8, v26
	v_mov_b32_e32 v7, v27
	v_add_nc_u32_e32 v10, 0xfa, v26
	v_mov_b32_e32 v11, v27
	v_add_nc_u32_e32 v16, 0x12c, v26
	v_add_co_u32 v12, vcc_lo, v0, v2
	v_lshlrev_b64 v[6:7], 3, v[6:7]
	v_add_co_ci_u32_e32 v13, vcc_lo, v1, v3, vcc_lo
	ds_read2_b64 v[2:5], v18 offset0:200 offset1:250
	v_lshlrev_b64 v[10:11], 3, v[10:11]
	ds_read_b64 v[14:15], v18 offset:2400
	v_add_co_u32 v6, vcc_lo, v0, v6
	v_lshlrev_b64 v[16:17], 3, v[16:17]
	v_add_co_ci_u32_e32 v7, vcc_lo, v1, v7, vcc_lo
	v_add_co_u32 v10, vcc_lo, v0, v10
	v_add_co_ci_u32_e32 v11, vcc_lo, v1, v11, vcc_lo
	v_add_co_u32 v16, vcc_lo, v0, v16
	v_add_co_ci_u32_e32 v17, vcc_lo, v1, v17, vcc_lo
	v_cmp_eq_u32_e32 vcc_lo, 49, v26
	global_store_dwordx2 v[12:13], v[8:9], off
	s_waitcnt lgkmcnt(1)
	global_store_dwordx2 v[6:7], v[2:3], off
	global_store_dwordx2 v[10:11], v[4:5], off
	s_waitcnt lgkmcnt(0)
	global_store_dwordx2 v[16:17], v[14:15], off
	s_and_b32 exec_lo, exec_lo, vcc_lo
	s_cbranch_execz .LBB0_28
; %bb.27:
	ds_read_b64 v[2:3], v27 offset:2800
	v_add_co_u32 v0, vcc_lo, 0x800, v0
	v_add_co_ci_u32_e32 v1, vcc_lo, 0, v1, vcc_lo
	s_waitcnt lgkmcnt(0)
	global_store_dwordx2 v[0:1], v[2:3], off offset:752
.LBB0_28:
	s_endpgm
	.section	.rodata,"a",@progbits
	.p2align	6, 0x0
	.amdhsa_kernel fft_rtc_fwd_len350_factors_5_7_10_wgs_50_tpt_50_sp_op_CI_CI_unitstride_sbrr_R2C_dirReg
		.amdhsa_group_segment_fixed_size 0
		.amdhsa_private_segment_fixed_size 0
		.amdhsa_kernarg_size 104
		.amdhsa_user_sgpr_count 6
		.amdhsa_user_sgpr_private_segment_buffer 1
		.amdhsa_user_sgpr_dispatch_ptr 0
		.amdhsa_user_sgpr_queue_ptr 0
		.amdhsa_user_sgpr_kernarg_segment_ptr 1
		.amdhsa_user_sgpr_dispatch_id 0
		.amdhsa_user_sgpr_flat_scratch_init 0
		.amdhsa_user_sgpr_private_segment_size 0
		.amdhsa_wavefront_size32 1
		.amdhsa_uses_dynamic_stack 0
		.amdhsa_system_sgpr_private_segment_wavefront_offset 0
		.amdhsa_system_sgpr_workgroup_id_x 1
		.amdhsa_system_sgpr_workgroup_id_y 0
		.amdhsa_system_sgpr_workgroup_id_z 0
		.amdhsa_system_sgpr_workgroup_info 0
		.amdhsa_system_vgpr_workitem_id 0
		.amdhsa_next_free_vgpr 61
		.amdhsa_next_free_sgpr 27
		.amdhsa_reserve_vcc 1
		.amdhsa_reserve_flat_scratch 0
		.amdhsa_float_round_mode_32 0
		.amdhsa_float_round_mode_16_64 0
		.amdhsa_float_denorm_mode_32 3
		.amdhsa_float_denorm_mode_16_64 3
		.amdhsa_dx10_clamp 1
		.amdhsa_ieee_mode 1
		.amdhsa_fp16_overflow 0
		.amdhsa_workgroup_processor_mode 1
		.amdhsa_memory_ordered 1
		.amdhsa_forward_progress 0
		.amdhsa_shared_vgpr_count 0
		.amdhsa_exception_fp_ieee_invalid_op 0
		.amdhsa_exception_fp_denorm_src 0
		.amdhsa_exception_fp_ieee_div_zero 0
		.amdhsa_exception_fp_ieee_overflow 0
		.amdhsa_exception_fp_ieee_underflow 0
		.amdhsa_exception_fp_ieee_inexact 0
		.amdhsa_exception_int_div_zero 0
	.end_amdhsa_kernel
	.text
.Lfunc_end0:
	.size	fft_rtc_fwd_len350_factors_5_7_10_wgs_50_tpt_50_sp_op_CI_CI_unitstride_sbrr_R2C_dirReg, .Lfunc_end0-fft_rtc_fwd_len350_factors_5_7_10_wgs_50_tpt_50_sp_op_CI_CI_unitstride_sbrr_R2C_dirReg
                                        ; -- End function
	.section	.AMDGPU.csdata,"",@progbits
; Kernel info:
; codeLenInByte = 5760
; NumSgprs: 29
; NumVgprs: 61
; ScratchSize: 0
; MemoryBound: 0
; FloatMode: 240
; IeeeMode: 1
; LDSByteSize: 0 bytes/workgroup (compile time only)
; SGPRBlocks: 3
; VGPRBlocks: 7
; NumSGPRsForWavesPerEU: 29
; NumVGPRsForWavesPerEU: 61
; Occupancy: 16
; WaveLimiterHint : 1
; COMPUTE_PGM_RSRC2:SCRATCH_EN: 0
; COMPUTE_PGM_RSRC2:USER_SGPR: 6
; COMPUTE_PGM_RSRC2:TRAP_HANDLER: 0
; COMPUTE_PGM_RSRC2:TGID_X_EN: 1
; COMPUTE_PGM_RSRC2:TGID_Y_EN: 0
; COMPUTE_PGM_RSRC2:TGID_Z_EN: 0
; COMPUTE_PGM_RSRC2:TIDIG_COMP_CNT: 0
	.text
	.p2alignl 6, 3214868480
	.fill 48, 4, 3214868480
	.type	__hip_cuid_31a96645cda5272,@object ; @__hip_cuid_31a96645cda5272
	.section	.bss,"aw",@nobits
	.globl	__hip_cuid_31a96645cda5272
__hip_cuid_31a96645cda5272:
	.byte	0                               ; 0x0
	.size	__hip_cuid_31a96645cda5272, 1

	.ident	"AMD clang version 19.0.0git (https://github.com/RadeonOpenCompute/llvm-project roc-6.4.0 25133 c7fe45cf4b819c5991fe208aaa96edf142730f1d)"
	.section	".note.GNU-stack","",@progbits
	.addrsig
	.addrsig_sym __hip_cuid_31a96645cda5272
	.amdgpu_metadata
---
amdhsa.kernels:
  - .args:
      - .actual_access:  read_only
        .address_space:  global
        .offset:         0
        .size:           8
        .value_kind:     global_buffer
      - .offset:         8
        .size:           8
        .value_kind:     by_value
      - .actual_access:  read_only
        .address_space:  global
        .offset:         16
        .size:           8
        .value_kind:     global_buffer
      - .actual_access:  read_only
        .address_space:  global
        .offset:         24
        .size:           8
        .value_kind:     global_buffer
      - .actual_access:  read_only
        .address_space:  global
        .offset:         32
        .size:           8
        .value_kind:     global_buffer
      - .offset:         40
        .size:           8
        .value_kind:     by_value
      - .actual_access:  read_only
        .address_space:  global
        .offset:         48
        .size:           8
        .value_kind:     global_buffer
      - .actual_access:  read_only
        .address_space:  global
        .offset:         56
        .size:           8
        .value_kind:     global_buffer
      - .offset:         64
        .size:           4
        .value_kind:     by_value
      - .actual_access:  read_only
        .address_space:  global
        .offset:         72
        .size:           8
        .value_kind:     global_buffer
      - .actual_access:  read_only
        .address_space:  global
        .offset:         80
        .size:           8
        .value_kind:     global_buffer
      - .actual_access:  read_only
        .address_space:  global
        .offset:         88
        .size:           8
        .value_kind:     global_buffer
      - .actual_access:  write_only
        .address_space:  global
        .offset:         96
        .size:           8
        .value_kind:     global_buffer
    .group_segment_fixed_size: 0
    .kernarg_segment_align: 8
    .kernarg_segment_size: 104
    .language:       OpenCL C
    .language_version:
      - 2
      - 0
    .max_flat_workgroup_size: 50
    .name:           fft_rtc_fwd_len350_factors_5_7_10_wgs_50_tpt_50_sp_op_CI_CI_unitstride_sbrr_R2C_dirReg
    .private_segment_fixed_size: 0
    .sgpr_count:     29
    .sgpr_spill_count: 0
    .symbol:         fft_rtc_fwd_len350_factors_5_7_10_wgs_50_tpt_50_sp_op_CI_CI_unitstride_sbrr_R2C_dirReg.kd
    .uniform_work_group_size: 1
    .uses_dynamic_stack: false
    .vgpr_count:     61
    .vgpr_spill_count: 0
    .wavefront_size: 32
    .workgroup_processor_mode: 1
amdhsa.target:   amdgcn-amd-amdhsa--gfx1030
amdhsa.version:
  - 1
  - 2
...

	.end_amdgpu_metadata
